;; amdgpu-corpus repo=ROCm/rocFFT kind=compiled arch=gfx1030 opt=O3
	.text
	.amdgcn_target "amdgcn-amd-amdhsa--gfx1030"
	.amdhsa_code_object_version 6
	.protected	fft_rtc_back_len245_factors_7_5_7_wgs_245_tpt_35_half_op_CI_CI_unitstride_sbrr_dirReg ; -- Begin function fft_rtc_back_len245_factors_7_5_7_wgs_245_tpt_35_half_op_CI_CI_unitstride_sbrr_dirReg
	.globl	fft_rtc_back_len245_factors_7_5_7_wgs_245_tpt_35_half_op_CI_CI_unitstride_sbrr_dirReg
	.p2align	8
	.type	fft_rtc_back_len245_factors_7_5_7_wgs_245_tpt_35_half_op_CI_CI_unitstride_sbrr_dirReg,@function
fft_rtc_back_len245_factors_7_5_7_wgs_245_tpt_35_half_op_CI_CI_unitstride_sbrr_dirReg: ; @fft_rtc_back_len245_factors_7_5_7_wgs_245_tpt_35_half_op_CI_CI_unitstride_sbrr_dirReg
; %bb.0:
	s_load_dwordx4 s[12:15], s[4:5], 0x0
	v_mul_u32_u24_e32 v1, 0x751, v0
	s_clause 0x1
	s_load_dwordx4 s[8:11], s[4:5], 0x58
	s_load_dwordx4 s[16:19], s[4:5], 0x18
	v_mov_b32_e32 v5, 0
	v_mov_b32_e32 v11, 0
	;; [unrolled: 1-line block ×3, first 2 shown]
	v_lshrrev_b32_e32 v1, 16, v1
	v_mad_u64_u32 v[9:10], null, s6, 7, v[1:2]
	v_mov_b32_e32 v10, v5
	v_mov_b32_e32 v1, v11
	;; [unrolled: 1-line block ×4, first 2 shown]
	s_waitcnt lgkmcnt(0)
	v_cmp_lt_u64_e64 s0, s[14:15], 2
	v_mov_b32_e32 v4, v10
	s_and_b32 vcc_lo, exec_lo, s0
	s_cbranch_vccnz .LBB0_8
; %bb.1:
	s_load_dwordx2 s[0:1], s[4:5], 0x10
	v_mov_b32_e32 v11, 0
	v_mov_b32_e32 v12, 0
	s_add_u32 s2, s18, 8
	v_mov_b32_e32 v7, v9
	s_addc_u32 s3, s19, 0
	v_mov_b32_e32 v1, v11
	v_mov_b32_e32 v8, v10
	s_add_u32 s6, s16, 8
	v_mov_b32_e32 v2, v12
	s_addc_u32 s7, s17, 0
	s_mov_b64 s[22:23], 1
	s_waitcnt lgkmcnt(0)
	s_add_u32 s20, s0, 8
	s_addc_u32 s21, s1, 0
.LBB0_2:                                ; =>This Inner Loop Header: Depth=1
	s_load_dwordx2 s[24:25], s[20:21], 0x0
                                        ; implicit-def: $vgpr3_vgpr4
	s_mov_b32 s0, exec_lo
	s_waitcnt lgkmcnt(0)
	v_or_b32_e32 v6, s25, v8
	v_cmpx_ne_u64_e32 0, v[5:6]
	s_xor_b32 s1, exec_lo, s0
	s_cbranch_execz .LBB0_4
; %bb.3:                                ;   in Loop: Header=BB0_2 Depth=1
	v_cvt_f32_u32_e32 v3, s24
	v_cvt_f32_u32_e32 v4, s25
	s_sub_u32 s0, 0, s24
	s_subb_u32 s26, 0, s25
	v_fmac_f32_e32 v3, 0x4f800000, v4
	v_rcp_f32_e32 v3, v3
	v_mul_f32_e32 v3, 0x5f7ffffc, v3
	v_mul_f32_e32 v4, 0x2f800000, v3
	v_trunc_f32_e32 v4, v4
	v_fmac_f32_e32 v3, 0xcf800000, v4
	v_cvt_u32_f32_e32 v4, v4
	v_cvt_u32_f32_e32 v3, v3
	v_mul_lo_u32 v6, s0, v4
	v_mul_hi_u32 v10, s0, v3
	v_mul_lo_u32 v13, s26, v3
	v_add_nc_u32_e32 v6, v10, v6
	v_mul_lo_u32 v10, s0, v3
	v_add_nc_u32_e32 v6, v6, v13
	v_mul_hi_u32 v13, v3, v10
	v_mul_lo_u32 v14, v3, v6
	v_mul_hi_u32 v15, v3, v6
	v_mul_hi_u32 v16, v4, v10
	v_mul_lo_u32 v10, v4, v10
	v_mul_hi_u32 v17, v4, v6
	v_mul_lo_u32 v6, v4, v6
	v_add_co_u32 v13, vcc_lo, v13, v14
	v_add_co_ci_u32_e32 v14, vcc_lo, 0, v15, vcc_lo
	v_add_co_u32 v10, vcc_lo, v13, v10
	v_add_co_ci_u32_e32 v10, vcc_lo, v14, v16, vcc_lo
	v_add_co_ci_u32_e32 v13, vcc_lo, 0, v17, vcc_lo
	v_add_co_u32 v6, vcc_lo, v10, v6
	v_add_co_ci_u32_e32 v10, vcc_lo, 0, v13, vcc_lo
	v_add_co_u32 v3, vcc_lo, v3, v6
	v_add_co_ci_u32_e32 v4, vcc_lo, v4, v10, vcc_lo
	v_mul_hi_u32 v6, s0, v3
	v_mul_lo_u32 v13, s26, v3
	v_mul_lo_u32 v10, s0, v4
	v_add_nc_u32_e32 v6, v6, v10
	v_mul_lo_u32 v10, s0, v3
	v_add_nc_u32_e32 v6, v6, v13
	v_mul_hi_u32 v13, v3, v10
	v_mul_lo_u32 v14, v3, v6
	v_mul_hi_u32 v15, v3, v6
	v_mul_hi_u32 v16, v4, v10
	v_mul_lo_u32 v10, v4, v10
	v_mul_hi_u32 v17, v4, v6
	v_mul_lo_u32 v6, v4, v6
	v_add_co_u32 v13, vcc_lo, v13, v14
	v_add_co_ci_u32_e32 v14, vcc_lo, 0, v15, vcc_lo
	v_add_co_u32 v10, vcc_lo, v13, v10
	v_add_co_ci_u32_e32 v10, vcc_lo, v14, v16, vcc_lo
	v_add_co_ci_u32_e32 v13, vcc_lo, 0, v17, vcc_lo
	v_add_co_u32 v6, vcc_lo, v10, v6
	v_add_co_ci_u32_e32 v10, vcc_lo, 0, v13, vcc_lo
	v_add_co_u32 v6, vcc_lo, v3, v6
	v_add_co_ci_u32_e32 v10, vcc_lo, v4, v10, vcc_lo
	v_mul_hi_u32 v17, v7, v6
	v_mad_u64_u32 v[13:14], null, v8, v6, 0
	v_mad_u64_u32 v[3:4], null, v7, v10, 0
	;; [unrolled: 1-line block ×3, first 2 shown]
	v_add_co_u32 v3, vcc_lo, v17, v3
	v_add_co_ci_u32_e32 v4, vcc_lo, 0, v4, vcc_lo
	v_add_co_u32 v3, vcc_lo, v3, v13
	v_add_co_ci_u32_e32 v3, vcc_lo, v4, v14, vcc_lo
	v_add_co_ci_u32_e32 v4, vcc_lo, 0, v16, vcc_lo
	v_add_co_u32 v6, vcc_lo, v3, v15
	v_add_co_ci_u32_e32 v10, vcc_lo, 0, v4, vcc_lo
	v_mul_lo_u32 v13, s25, v6
	v_mad_u64_u32 v[3:4], null, s24, v6, 0
	v_mul_lo_u32 v14, s24, v10
	v_sub_co_u32 v3, vcc_lo, v7, v3
	v_add3_u32 v4, v4, v14, v13
	v_sub_nc_u32_e32 v13, v8, v4
	v_subrev_co_ci_u32_e64 v13, s0, s25, v13, vcc_lo
	v_add_co_u32 v14, s0, v6, 2
	v_add_co_ci_u32_e64 v15, s0, 0, v10, s0
	v_sub_co_u32 v16, s0, v3, s24
	v_sub_co_ci_u32_e32 v4, vcc_lo, v8, v4, vcc_lo
	v_subrev_co_ci_u32_e64 v13, s0, 0, v13, s0
	v_cmp_le_u32_e32 vcc_lo, s24, v16
	v_cmp_eq_u32_e64 s0, s25, v4
	v_cndmask_b32_e64 v16, 0, -1, vcc_lo
	v_cmp_le_u32_e32 vcc_lo, s25, v13
	v_cndmask_b32_e64 v17, 0, -1, vcc_lo
	v_cmp_le_u32_e32 vcc_lo, s24, v3
	;; [unrolled: 2-line block ×3, first 2 shown]
	v_cndmask_b32_e64 v18, 0, -1, vcc_lo
	v_cmp_eq_u32_e32 vcc_lo, s25, v13
	v_cndmask_b32_e64 v3, v18, v3, s0
	v_cndmask_b32_e32 v13, v17, v16, vcc_lo
	v_add_co_u32 v16, vcc_lo, v6, 1
	v_add_co_ci_u32_e32 v17, vcc_lo, 0, v10, vcc_lo
	v_cmp_ne_u32_e32 vcc_lo, 0, v13
	v_cndmask_b32_e32 v4, v17, v15, vcc_lo
	v_cndmask_b32_e32 v13, v16, v14, vcc_lo
	v_cmp_ne_u32_e32 vcc_lo, 0, v3
	v_cndmask_b32_e32 v4, v10, v4, vcc_lo
	v_cndmask_b32_e32 v3, v6, v13, vcc_lo
.LBB0_4:                                ;   in Loop: Header=BB0_2 Depth=1
	s_andn2_saveexec_b32 s0, s1
	s_cbranch_execz .LBB0_6
; %bb.5:                                ;   in Loop: Header=BB0_2 Depth=1
	v_cvt_f32_u32_e32 v3, s24
	s_sub_i32 s1, 0, s24
	v_rcp_iflag_f32_e32 v3, v3
	v_mul_f32_e32 v3, 0x4f7ffffe, v3
	v_cvt_u32_f32_e32 v3, v3
	v_mul_lo_u32 v4, s1, v3
	v_mul_hi_u32 v4, v3, v4
	v_add_nc_u32_e32 v3, v3, v4
	v_mul_hi_u32 v3, v7, v3
	v_mul_lo_u32 v4, v3, s24
	v_add_nc_u32_e32 v6, 1, v3
	v_sub_nc_u32_e32 v4, v7, v4
	v_subrev_nc_u32_e32 v10, s24, v4
	v_cmp_le_u32_e32 vcc_lo, s24, v4
	v_cndmask_b32_e32 v4, v4, v10, vcc_lo
	v_cndmask_b32_e32 v3, v3, v6, vcc_lo
	v_cmp_le_u32_e32 vcc_lo, s24, v4
	v_add_nc_u32_e32 v6, 1, v3
	v_mov_b32_e32 v4, v5
	v_cndmask_b32_e32 v3, v3, v6, vcc_lo
.LBB0_6:                                ;   in Loop: Header=BB0_2 Depth=1
	s_or_b32 exec_lo, exec_lo, s0
	v_mul_lo_u32 v6, v4, s24
	v_mul_lo_u32 v10, v3, s25
	s_load_dwordx2 s[0:1], s[6:7], 0x0
	v_mad_u64_u32 v[13:14], null, v3, s24, 0
	s_load_dwordx2 s[24:25], s[2:3], 0x0
	s_add_u32 s22, s22, 1
	s_addc_u32 s23, s23, 0
	s_add_u32 s2, s2, 8
	s_addc_u32 s3, s3, 0
	s_add_u32 s6, s6, 8
	v_add3_u32 v6, v14, v10, v6
	v_sub_co_u32 v7, vcc_lo, v7, v13
	s_addc_u32 s7, s7, 0
	s_add_u32 s20, s20, 8
	v_sub_co_ci_u32_e32 v6, vcc_lo, v8, v6, vcc_lo
	s_addc_u32 s21, s21, 0
	s_waitcnt lgkmcnt(0)
	v_mul_lo_u32 v8, s0, v6
	v_mul_lo_u32 v10, s1, v7
	v_mad_u64_u32 v[11:12], null, s0, v7, v[11:12]
	v_mul_lo_u32 v6, s24, v6
	v_mul_lo_u32 v13, s25, v7
	v_mad_u64_u32 v[1:2], null, s24, v7, v[1:2]
	v_cmp_ge_u64_e64 s0, s[22:23], s[14:15]
	v_add3_u32 v12, v10, v12, v8
	v_add3_u32 v2, v13, v2, v6
	s_and_b32 vcc_lo, exec_lo, s0
	s_cbranch_vccnz .LBB0_8
; %bb.7:                                ;   in Loop: Header=BB0_2 Depth=1
	v_mov_b32_e32 v8, v4
	v_mov_b32_e32 v7, v3
	s_branch .LBB0_2
.LBB0_8:
	s_load_dwordx2 s[0:1], s[4:5], 0x28
	v_mul_hi_u32 v8, 0x7507508, v0
	s_lshl_b64 s[4:5], s[14:15], 3
                                        ; implicit-def: $sgpr14
                                        ; implicit-def: $sgpr6_sgpr7
                                        ; implicit-def: $vgpr7
	s_add_u32 s2, s18, s4
	s_addc_u32 s3, s19, s5
	s_waitcnt lgkmcnt(0)
	v_cmp_gt_u64_e32 vcc_lo, s[0:1], v[3:4]
	v_cmp_le_u64_e64 s0, s[0:1], v[3:4]
	s_and_saveexec_b32 s1, s0
	s_xor_b32 s0, exec_lo, s1
; %bb.9:
	v_mul_u32_u24_e32 v5, 35, v8
	s_mov_b64 s[6:7], 0
	s_mov_b32 s14, 0
                                        ; implicit-def: $vgpr8
                                        ; implicit-def: $vgpr11_vgpr12
	v_sub_nc_u32_e32 v7, v0, v5
                                        ; implicit-def: $vgpr0
; %bb.10:
	s_or_saveexec_b32 s1, s0
	v_mov_b32_e32 v5, s6
	v_mov_b32_e32 v13, s14
	;; [unrolled: 1-line block ×6, first 2 shown]
                                        ; implicit-def: $vgpr14
                                        ; implicit-def: $vgpr19
                                        ; implicit-def: $vgpr17
                                        ; implicit-def: $vgpr18
	s_xor_b32 exec_lo, exec_lo, s1
	s_cbranch_execz .LBB0_12
; %bb.11:
	s_add_u32 s4, s16, s4
	s_addc_u32 s5, s17, s5
	s_load_dwordx2 s[4:5], s[4:5], 0x0
	s_waitcnt lgkmcnt(0)
	v_mul_lo_u32 v7, s5, v3
	v_mul_lo_u32 v10, s4, v4
	v_mad_u64_u32 v[5:6], null, s4, v3, 0
	v_add3_u32 v6, v6, v10, v7
	v_mul_u32_u24_e32 v7, 35, v8
	v_lshlrev_b64 v[10:11], 2, v[11:12]
	v_lshlrev_b64 v[5:6], 2, v[5:6]
	v_sub_nc_u32_e32 v7, v0, v7
	v_add_co_u32 v0, s0, s8, v5
	v_add_co_ci_u32_e64 v5, s0, s9, v6, s0
	v_lshlrev_b32_e32 v6, 2, v7
	v_add_co_u32 v0, s0, v0, v10
	v_add_co_ci_u32_e64 v8, s0, v5, v11, s0
	v_add_co_u32 v5, s0, v0, v6
	v_add_co_ci_u32_e64 v6, s0, 0, v8, s0
	v_mov_b32_e32 v8, 0
	s_clause 0x6
	global_load_dword v0, v[5:6], off offset:420
	global_load_dword v11, v[5:6], off offset:700
	;; [unrolled: 1-line block ×3, first 2 shown]
	global_load_dword v10, v[5:6], off
	global_load_dword v13, v[5:6], off offset:140
	global_load_dword v16, v[5:6], off offset:280
	;; [unrolled: 1-line block ×3, first 2 shown]
	v_mov_b32_e32 v5, v7
	v_mov_b32_e32 v6, v8
	s_waitcnt vmcnt(5)
	v_lshrrev_b32_e32 v19, 16, v11
	s_waitcnt vmcnt(4)
	v_bfi_b32 v17, 0xffff, v0, v14
	v_bfi_b32 v18, 0xffff, v11, v0
.LBB0_12:
	s_or_b32 exec_lo, exec_lo, s1
	v_mul_hi_u32 v0, 0x24924925, v9
	s_waitcnt vmcnt(2)
	v_add_f16_e32 v8, v14, v13
	s_waitcnt vmcnt(1)
	v_add_f16_sdwa v11, v19, v16 dst_sel:DWORD dst_unused:UNUSED_PAD src0_sel:DWORD src1_sel:WORD_1
	s_waitcnt vmcnt(0)
	v_bfi_b32 v12, 0xffff, v15, v13
	v_bfi_b32 v20, 0xffff, v16, v15
	v_alignbit_b32 v16, v15, v16, 16
	v_alignbit_b32 v13, v13, v15, 16
	v_perm_b32 v19, v17, v19, 0x5040100
	v_sub_nc_u32_e32 v15, v9, v0
	v_alignbit_b32 v14, v14, v18, 16
	v_pk_add_f16 v21, v12, v17 neg_lo:[0,1] neg_hi:[0,1]
	v_pk_add_f16 v12, v17, v12
	v_pk_add_f16 v17, v18, v20
	v_lshrrev_b32_e32 v15, 1, v15
	v_pk_add_f16 v22, v20, v18 neg_lo:[0,1] neg_hi:[0,1]
	v_pk_add_f16 v16, v16, v19 neg_lo:[0,1] neg_hi:[0,1]
	;; [unrolled: 1-line block ×3, first 2 shown]
	v_bfi_b32 v14, 0xffff, v8, v12
	v_add_nc_u32_e32 v0, v15, v0
	v_pack_b32_f16 v15, v17, v11
	v_pk_add_f16 v18, v12, v17 neg_lo:[0,1] neg_hi:[0,1]
	v_bfi_b32 v8, 0xffff, v8, v17
	v_pack_b32_f16 v11, v12, v11
	v_lshrrev_b32_e32 v0, 2, v0
	v_pack_b32_f16 v19, v13, v22
	v_perm_b32 v23, v16, v21, 0x7060302
	v_bfi_b32 v12, 0xffff, v12, v17
	v_pk_add_f16 v17, v14, v15
	v_mul_lo_u32 v0, v0, 7
	v_pk_add_f16 v20, v13, v16 neg_lo:[0,1] neg_hi:[0,1]
	v_perm_b32 v13, v13, v21, 0x7060302
	v_pack_b32_f16 v21, v16, v22
	v_pk_add_f16 v8, v8, v11 neg_lo:[0,1] neg_hi:[0,1]
	v_pk_add_f16 v11, v19, v16
	v_pk_add_f16 v16, v23, v19 neg_lo:[0,1] neg_hi:[0,1]
	v_pk_add_f16 v12, v17, v12
	v_sub_nc_u32_e32 v0, v9, v0
	v_pk_mul_f16 v9, 0x3a522b26, v18
	v_pk_mul_f16 v17, 0xb5743846, v20
	;; [unrolled: 1-line block ×3, first 2 shown]
	v_pk_add_f16 v10, v12, v10
	v_mul_u32_u24_e32 v22, 0xf5, v0
	v_pk_mul_f16 v0, 0x3846b574, v16
	v_pk_add_f16 v11, v13, v11
	v_pk_fma_f16 v16, 0x3a522b26, v18, v8
	v_pk_fma_f16 v12, 0xbcab, v12, v10 op_sel_hi:[0,1,1]
	v_pk_add_f16 v14, v15, v14 neg_lo:[0,1] neg_hi:[0,1]
	v_pk_fma_f16 v19, 0xb5743846, v20, v0
	v_pk_add_f16 v13, v21, v13 neg_lo:[0,1] neg_hi:[0,1]
	v_bfi_b32 v15, 0xffff, v8, v9
	v_bfi_b32 v20, 0xffff, v0, v17
	;; [unrolled: 1-line block ×4, first 2 shown]
	v_pk_add_f16 v9, v16, v12
	v_pk_fma_f16 v15, 0x39e0, v14, v15 op_sel_hi:[0,1,1] neg_lo:[0,1,1] neg_hi:[0,1,1]
	v_pk_fma_f16 v16, 0xbb00, v13, v20 op_sel_hi:[0,1,1] neg_lo:[0,1,1] neg_hi:[0,1,1]
	;; [unrolled: 1-line block ×4, first 2 shown]
	v_pk_fma_f16 v13, 0xb70e, v11, v19 op_sel_hi:[0,1,1]
	v_pk_add_f16 v14, v15, v12
	v_pk_fma_f16 v15, 0xb70e, v11, v16 op_sel_hi:[0,1,1]
	v_pk_add_f16 v12, v8, v12
	v_pk_fma_f16 v0, 0xb70e, v11, v0 op_sel_hi:[0,1,1]
	v_lshl_add_u32 v18, v22, 2, 0
	v_pk_add_f16 v11, v9, v13
	v_pk_add_f16 v9, v9, v13 neg_lo:[0,1] neg_hi:[0,1]
	v_pk_add_f16 v16, v14, v15
	v_pk_add_f16 v8, v14, v15 neg_lo:[0,1] neg_hi:[0,1]
	v_pk_add_f16 v13, v12, v0 neg_lo:[0,1] neg_hi:[0,1]
	v_pk_add_f16 v0, v12, v0
	v_mad_u32_u24 v12, v7, 28, v18
	v_bfi_b32 v14, 0xffff, v11, v9
	v_bfi_b32 v15, 0xffff, v16, v8
	;; [unrolled: 1-line block ×6, first 2 shown]
	s_load_dwordx2 s[2:3], s[2:3], 0x0
	ds_write_b32 v12, v10
	ds_write2_b32 v12, v14, v15 offset0:1 offset1:2
	ds_write2_b32 v12, v17, v0 offset0:3 offset1:4
	;; [unrolled: 1-line block ×3, first 2 shown]
	v_lshl_add_u32 v0, v7, 2, v18
	v_mad_i32_i24 v24, 0xffffffe8, v7, v12
	s_waitcnt lgkmcnt(0)
	s_barrier
	buffer_gl0_inv
	ds_read_b32 v23, v0
	ds_read2_b32 v[14:15], v24 offset0:49 offset1:98
	ds_read2_b32 v[12:13], v24 offset0:147 offset1:196
	v_lshrrev_b32_e32 v20, 16, v11
	v_lshrrev_b32_e32 v16, 16, v16
	v_cmp_gt_u32_e64 s0, 14, v7
                                        ; implicit-def: $vgpr18
                                        ; implicit-def: $vgpr17
                                        ; implicit-def: $vgpr19
                                        ; implicit-def: $vgpr11
                                        ; implicit-def: $vgpr21
	s_and_saveexec_b32 s1, s0
	s_cbranch_execz .LBB0_14
; %bb.13:
	ds_read2_b32 v[8:9], v24 offset0:35 offset1:84
	ds_read_b32 v17, v24 offset:924
	ds_read2_b32 v[10:11], v24 offset0:133 offset1:182
	ds_read_u16 v19, v24 offset:730
	s_waitcnt lgkmcnt(3)
	v_lshrrev_b32_e32 v16, 16, v8
	s_waitcnt lgkmcnt(2)
	v_lshrrev_b32_e32 v18, 16, v17
	v_lshrrev_b32_e32 v20, 16, v9
	s_waitcnt lgkmcnt(1)
	v_lshrrev_b32_e32 v21, 16, v10
.LBB0_14:
	s_or_b32 exec_lo, exec_lo, s1
	v_and_b32_e32 v24, 0xff, v7
	s_waitcnt lgkmcnt(1)
	v_lshrrev_b32_e32 v33, 16, v14
	v_lshlrev_b32_e32 v22, 2, v22
	v_lshrrev_b32_e32 v34, 16, v15
	s_waitcnt lgkmcnt(0)
	v_lshrrev_b32_e32 v35, 16, v12
	v_mul_lo_u16 v24, v24, 37
	v_lshrrev_b32_e32 v36, 16, v13
	v_lshrrev_b32_e32 v32, 16, v23
	v_lshrrev_b16 v24, 8, v24
	v_sub_nc_u16 v25, v7, v24
	v_lshrrev_b16 v25, 1, v25
	v_and_b32_e32 v25, 0x7f, v25
	v_add_nc_u16 v24, v25, v24
	v_lshrrev_b16 v25, 2, v24
	v_mov_b32_e32 v24, 4
	v_mul_lo_u16 v26, v25, 7
	v_and_b32_e32 v31, 0xffff, v25
	v_mov_b32_e32 v25, 2
	v_sub_nc_u16 v30, v7, v26
	v_mad_u32_u24 v31, 0x8c, v31, 0
	v_lshlrev_b32_sdwa v26, v24, v30 dst_sel:DWORD dst_unused:UNUSED_PAD src0_sel:DWORD src1_sel:BYTE_0
	v_lshlrev_b32_sdwa v30, v25, v30 dst_sel:DWORD dst_unused:UNUSED_PAD src0_sel:DWORD src1_sel:BYTE_0
	global_load_dwordx4 v[26:29], v26, s[12:13]
	v_add3_u32 v30, v31, v30, v22
	s_waitcnt vmcnt(0)
	s_barrier
	buffer_gl0_inv
	v_mul_f16_sdwa v31, v26, v33 dst_sel:DWORD dst_unused:UNUSED_PAD src0_sel:WORD_1 src1_sel:DWORD
	v_mul_f16_sdwa v37, v26, v14 dst_sel:DWORD dst_unused:UNUSED_PAD src0_sel:WORD_1 src1_sel:DWORD
	v_mul_f16_sdwa v38, v27, v34 dst_sel:DWORD dst_unused:UNUSED_PAD src0_sel:WORD_1 src1_sel:DWORD
	v_mul_f16_sdwa v39, v27, v15 dst_sel:DWORD dst_unused:UNUSED_PAD src0_sel:WORD_1 src1_sel:DWORD
	v_mul_f16_sdwa v40, v28, v35 dst_sel:DWORD dst_unused:UNUSED_PAD src0_sel:WORD_1 src1_sel:DWORD
	v_mul_f16_sdwa v41, v28, v12 dst_sel:DWORD dst_unused:UNUSED_PAD src0_sel:WORD_1 src1_sel:DWORD
	v_mul_f16_sdwa v42, v29, v36 dst_sel:DWORD dst_unused:UNUSED_PAD src0_sel:WORD_1 src1_sel:DWORD
	v_mul_f16_sdwa v43, v29, v13 dst_sel:DWORD dst_unused:UNUSED_PAD src0_sel:WORD_1 src1_sel:DWORD
	v_fmac_f16_e32 v31, v26, v14
	v_fma_f16 v14, v26, v33, -v37
	v_fmac_f16_e32 v38, v27, v15
	v_fma_f16 v15, v27, v34, -v39
	;; [unrolled: 2-line block ×4, first 2 shown]
	v_add_f16_e32 v39, v32, v14
	v_add_f16_e32 v27, v38, v40
	;; [unrolled: 1-line block ×6, first 2 shown]
	v_sub_f16_e32 v28, v14, v12
	v_sub_f16_e32 v29, v15, v26
	;; [unrolled: 1-line block ×9, first 2 shown]
	v_fma_f16 v27, -0.5, v27, v23
	v_fmac_f16_e32 v23, -0.5, v35
	v_add_f16_e32 v15, v39, v15
	v_fma_f16 v35, -0.5, v41, v32
	v_sub_f16_e32 v43, v38, v40
	v_fmac_f16_e32 v32, -0.5, v46
	v_sub_f16_e32 v45, v12, v26
	v_sub_f16_e32 v47, v26, v12
	v_add_f16_e32 v13, v13, v38
	v_add_f16_e32 v33, v33, v34
	;; [unrolled: 1-line block ×3, first 2 shown]
	v_fmamk_f16 v37, v28, 0xbb9c, v27
	v_add_f16_e32 v15, v15, v26
	v_fmamk_f16 v26, v31, 0x3b9c, v35
	v_fmamk_f16 v38, v29, 0x3b9c, v23
	v_fmac_f16_e32 v23, 0xbb9c, v29
	v_fmamk_f16 v39, v43, 0xbb9c, v32
	v_fmac_f16_e32 v32, 0x3b9c, v43
	v_fmac_f16_e32 v27, 0x3b9c, v28
	;; [unrolled: 1-line block ×3, first 2 shown]
	v_add_f16_e32 v36, v44, v45
	v_add_f16_e32 v13, v13, v40
	v_fmac_f16_e32 v37, 0xb8b4, v29
	v_fmac_f16_e32 v26, 0x38b4, v43
	v_add_f16_e32 v14, v14, v47
	v_fmac_f16_e32 v38, 0xb8b4, v28
	v_fmac_f16_e32 v23, 0x38b4, v28
	;; [unrolled: 1-line block ×6, first 2 shown]
	v_add_f16_e32 v13, v13, v42
	v_add_f16_e32 v12, v15, v12
	v_fmac_f16_e32 v37, 0x34f2, v33
	v_fmac_f16_e32 v26, 0x34f2, v36
	;; [unrolled: 1-line block ×8, first 2 shown]
	v_pack_b32_f16 v12, v13, v12
	v_pack_b32_f16 v13, v37, v26
	;; [unrolled: 1-line block ×5, first 2 shown]
	ds_write2_b32 v30, v12, v13 offset1:7
	ds_write2_b32 v30, v14, v15 offset0:14 offset1:21
	ds_write_b32 v30, v23 offset:112
	s_and_saveexec_b32 s1, s0
	s_cbranch_execz .LBB0_16
; %bb.15:
	v_add_nc_u16 v12, v7, 35
	v_and_b32_e32 v13, 0xff, v12
	v_mul_lo_u16 v13, v13, 37
	v_lshrrev_b16 v13, 8, v13
	v_sub_nc_u16 v14, v12, v13
	v_lshrrev_b16 v14, 1, v14
	v_and_b32_e32 v14, 0x7f, v14
	v_add_nc_u16 v13, v14, v13
	v_lshrrev_b16 v23, 2, v13
	v_mul_lo_u16 v13, v23, 7
	v_and_b32_e32 v23, 0xffff, v23
	v_sub_nc_u16 v26, v12, v13
	v_mad_u32_u24 v23, 0x8c, v23, 0
	v_lshlrev_b32_sdwa v12, v24, v26 dst_sel:DWORD dst_unused:UNUSED_PAD src0_sel:DWORD src1_sel:BYTE_0
	v_lshlrev_b32_sdwa v24, v25, v26 dst_sel:DWORD dst_unused:UNUSED_PAD src0_sel:DWORD src1_sel:BYTE_0
	global_load_dwordx4 v[12:15], v12, s[12:13]
	v_add3_u32 v23, v23, v24, v22
	s_waitcnt vmcnt(0)
	v_mul_f16_sdwa v24, v10, v13 dst_sel:DWORD dst_unused:UNUSED_PAD src0_sel:DWORD src1_sel:WORD_1
	v_mul_f16_sdwa v25, v9, v12 dst_sel:DWORD dst_unused:UNUSED_PAD src0_sel:DWORD src1_sel:WORD_1
	;; [unrolled: 1-line block ×8, first 2 shown]
	v_fma_f16 v21, v21, v13, -v24
	v_fma_f16 v20, v20, v12, -v25
	;; [unrolled: 1-line block ×4, first 2 shown]
	v_fmac_f16_e32 v28, v10, v13
	v_fmac_f16_e32 v29, v11, v14
	;; [unrolled: 1-line block ×4, first 2 shown]
	v_sub_f16_e32 v9, v21, v20
	v_sub_f16_e32 v10, v19, v18
	v_add_f16_e32 v12, v20, v18
	v_sub_f16_e32 v14, v20, v21
	v_sub_f16_e32 v15, v18, v19
	v_add_f16_e32 v17, v21, v19
	v_add_f16_e32 v27, v30, v31
	;; [unrolled: 1-line block ×4, first 2 shown]
	v_sub_f16_e32 v13, v30, v31
	v_sub_f16_e32 v25, v28, v30
	;; [unrolled: 1-line block ×5, first 2 shown]
	v_add_f16_e32 v30, v8, v30
	v_add_f16_e32 v9, v9, v10
	v_fma_f16 v10, -0.5, v12, v16
	v_add_f16_e32 v12, v14, v15
	v_fma_f16 v14, -0.5, v17, v16
	v_fma_f16 v17, -0.5, v27, v8
	;; [unrolled: 1-line block ×3, first 2 shown]
	v_sub_f16_e32 v11, v28, v29
	v_sub_f16_e32 v32, v21, v19
	v_add_f16_e32 v15, v24, v21
	v_sub_f16_e32 v34, v31, v29
	v_add_f16_e32 v16, v25, v26
	v_add_f16_e32 v24, v30, v28
	v_fmamk_f16 v26, v13, 0xbb9c, v14
	v_fmac_f16_e32 v14, 0x3b9c, v13
	v_fmamk_f16 v27, v20, 0x3b9c, v8
	v_fmac_f16_e32 v8, 0xbb9c, v20
	;; [unrolled: 2-line block ×3, first 2 shown]
	v_add_f16_e32 v15, v15, v19
	v_fmamk_f16 v19, v32, 0xbb9c, v17
	v_fmac_f16_e32 v17, 0x3b9c, v32
	v_add_f16_e32 v21, v33, v34
	v_add_f16_e32 v24, v24, v29
	v_fmac_f16_e32 v14, 0x38b4, v11
	v_fmac_f16_e32 v8, 0xb8b4, v32
	;; [unrolled: 1-line block ×8, first 2 shown]
	v_add_f16_e32 v11, v15, v18
	v_add_f16_e32 v13, v24, v31
	v_fmac_f16_e32 v14, 0x34f2, v12
	v_fmac_f16_e32 v8, 0x34f2, v21
	;; [unrolled: 1-line block ×8, first 2 shown]
	v_pack_b32_f16 v9, v13, v11
	v_pack_b32_f16 v8, v8, v14
	;; [unrolled: 1-line block ×5, first 2 shown]
	ds_write2_b32 v23, v9, v8 offset1:7
	ds_write2_b32 v23, v10, v11 offset0:14 offset1:21
	ds_write_b32 v23, v12 offset:112
.LBB0_16:
	s_or_b32 exec_lo, exec_lo, s1
	s_waitcnt lgkmcnt(0)
	s_barrier
	buffer_gl0_inv
	s_and_saveexec_b32 s0, vcc_lo
	s_cbranch_execz .LBB0_18
; %bb.17:
	v_mul_u32_u24_e32 v8, 6, v7
	v_mul_lo_u32 v14, s3, v3
	v_mul_lo_u32 v15, s2, v4
	v_mad_u64_u32 v[3:4], null, s2, v3, 0
	v_lshlrev_b32_e32 v12, 2, v8
	v_lshlrev_b32_e32 v7, 2, v7
	v_lshlrev_b64 v[1:2], 2, v[1:2]
	s_clause 0x1
	global_load_dwordx4 v[8:11], v12, s[12:13] offset:112
	global_load_dwordx2 v[12:13], v12, s[12:13] offset:128
	v_add3_u32 v7, 0, v7, v22
	v_add3_u32 v4, v4, v15, v14
	ds_read2_b32 v[14:15], v7 offset0:35 offset1:70
	ds_read2_b32 v[16:17], v7 offset0:175 offset1:210
	v_lshlrev_b64 v[3:4], 2, v[3:4]
	ds_read2_b32 v[18:19], v7 offset0:105 offset1:140
	v_add_co_u32 v7, vcc_lo, s10, v3
	v_add_co_ci_u32_e32 v20, vcc_lo, s11, v4, vcc_lo
	v_lshlrev_b64 v[3:4], 2, v[5:6]
	v_add_co_u32 v1, vcc_lo, v7, v1
	v_add_co_ci_u32_e32 v2, vcc_lo, v20, v2, vcc_lo
	ds_read_b32 v5, v0
	v_add_co_u32 v0, vcc_lo, v1, v3
	v_add_co_ci_u32_e32 v1, vcc_lo, v2, v4, vcc_lo
	s_waitcnt lgkmcnt(3)
	v_lshrrev_b32_e32 v2, 16, v14
	s_waitcnt lgkmcnt(2)
	v_lshrrev_b32_e32 v3, 16, v17
	v_lshrrev_b32_e32 v7, 16, v15
	;; [unrolled: 1-line block ×3, first 2 shown]
	s_waitcnt lgkmcnt(1)
	v_lshrrev_b32_e32 v4, 16, v19
	v_lshrrev_b32_e32 v6, 16, v18
	s_waitcnt vmcnt(1)
	v_mul_f16_sdwa v21, v8, v2 dst_sel:DWORD dst_unused:UNUSED_PAD src0_sel:WORD_1 src1_sel:DWORD
	s_waitcnt vmcnt(0)
	v_mul_f16_sdwa v22, v13, v3 dst_sel:DWORD dst_unused:UNUSED_PAD src0_sel:WORD_1 src1_sel:DWORD
	v_mul_f16_sdwa v25, v9, v7 dst_sel:DWORD dst_unused:UNUSED_PAD src0_sel:WORD_1 src1_sel:DWORD
	;; [unrolled: 1-line block ×11, first 2 shown]
	v_fmac_f16_e32 v21, v8, v14
	v_fmac_f16_e32 v22, v13, v17
	;; [unrolled: 1-line block ×4, first 2 shown]
	v_fma_f16 v3, v13, v3, -v27
	v_fma_f16 v2, v8, v2, -v28
	;; [unrolled: 1-line block ×4, first 2 shown]
	v_fmac_f16_e32 v23, v11, v19
	v_fmac_f16_e32 v24, v10, v18
	v_fma_f16 v6, v10, v6, -v29
	v_fma_f16 v4, v11, v4, -v30
	v_add_f16_e32 v12, v2, v3
	v_add_f16_e32 v14, v7, v8
	;; [unrolled: 1-line block ×4, first 2 shown]
	v_sub_f16_e32 v9, v21, v22
	v_sub_f16_e32 v10, v23, v24
	;; [unrolled: 1-line block ×3, first 2 shown]
	v_add_f16_e32 v13, v4, v6
	v_add_f16_e32 v16, v23, v24
	v_sub_f16_e32 v2, v2, v3
	v_sub_f16_e32 v3, v4, v6
	;; [unrolled: 1-line block ×3, first 2 shown]
	v_add_f16_e32 v19, v12, v14
	v_add_f16_e32 v22, v15, v17
	v_sub_f16_e32 v6, v9, v10
	v_sub_f16_e32 v7, v10, v11
	v_add_f16_e32 v8, v10, v11
	v_sub_f16_e32 v10, v12, v13
	v_sub_f16_e32 v18, v13, v14
	;; [unrolled: 1-line block ×6, first 2 shown]
	v_add_f16_e32 v3, v3, v4
	v_sub_f16_e32 v11, v11, v9
	v_sub_f16_e32 v4, v4, v2
	v_add_f16_e32 v13, v13, v19
	v_add_f16_e32 v16, v16, v22
	v_sub_f16_e32 v12, v14, v12
	v_sub_f16_e32 v14, v17, v15
	v_mul_f16_e32 v7, 0x3846, v7
	v_add_f16_e32 v8, v9, v8
	v_mul_f16_e32 v9, 0x3a52, v10
	v_mul_f16_e32 v15, 0x2b26, v18
	;; [unrolled: 1-line block ×5, first 2 shown]
	v_add_f16_e32 v2, v2, v3
	v_mul_f16_e32 v3, 0xbb00, v11
	v_mul_f16_e32 v21, 0xbb00, v4
	s_waitcnt lgkmcnt(0)
	v_add_f16_sdwa v24, v13, v5 dst_sel:DWORD dst_unused:UNUSED_PAD src0_sel:DWORD src1_sel:WORD_1
	v_add_f16_e32 v5, v16, v5
	v_fmamk_f16 v22, v6, 0xb574, v7
	v_fmamk_f16 v10, v10, 0x3a52, v15
	;; [unrolled: 1-line block ×4, first 2 shown]
	v_fma_f16 v3, v6, 0x3574, -v3
	v_fma_f16 v6, v12, 0xb9e0, -v9
	;; [unrolled: 1-line block ×7, first 2 shown]
	v_fmamk_f16 v13, v13, 0xbcab, v24
	v_fmamk_f16 v14, v16, 0xbcab, v5
	v_fma_f16 v12, v12, 0x39e0, -v15
	v_fmac_f16_e32 v22, 0xb70e, v8
	v_fmac_f16_e32 v25, 0xb70e, v2
	;; [unrolled: 1-line block ×6, first 2 shown]
	v_pack_b32_f16 v2, v5, v24
	v_add_f16_e32 v5, v10, v13
	v_add_f16_e32 v8, v20, v14
	;; [unrolled: 1-line block ×6, first 2 shown]
	global_store_dword v[0:1], v2, off
	v_add_f16_e32 v2, v22, v5
	v_add_f16_e32 v13, v3, v6
	v_sub_f16_e32 v3, v6, v3
	v_sub_f16_e32 v5, v5, v22
	v_add_f16_e32 v6, v25, v8
	v_sub_f16_e32 v12, v8, v25
	v_add_f16_e32 v8, v17, v9
	;; [unrolled: 2-line block ×4, first 2 shown]
	v_sub_f16_e32 v9, v9, v17
	v_pack_b32_f16 v5, v6, v5
	v_pack_b32_f16 v3, v8, v3
	;; [unrolled: 1-line block ×6, first 2 shown]
	global_store_dword v[0:1], v5, off offset:140
	global_store_dword v[0:1], v3, off offset:280
	;; [unrolled: 1-line block ×6, first 2 shown]
.LBB0_18:
	s_endpgm
	.section	.rodata,"a",@progbits
	.p2align	6, 0x0
	.amdhsa_kernel fft_rtc_back_len245_factors_7_5_7_wgs_245_tpt_35_half_op_CI_CI_unitstride_sbrr_dirReg
		.amdhsa_group_segment_fixed_size 0
		.amdhsa_private_segment_fixed_size 0
		.amdhsa_kernarg_size 104
		.amdhsa_user_sgpr_count 6
		.amdhsa_user_sgpr_private_segment_buffer 1
		.amdhsa_user_sgpr_dispatch_ptr 0
		.amdhsa_user_sgpr_queue_ptr 0
		.amdhsa_user_sgpr_kernarg_segment_ptr 1
		.amdhsa_user_sgpr_dispatch_id 0
		.amdhsa_user_sgpr_flat_scratch_init 0
		.amdhsa_user_sgpr_private_segment_size 0
		.amdhsa_wavefront_size32 1
		.amdhsa_uses_dynamic_stack 0
		.amdhsa_system_sgpr_private_segment_wavefront_offset 0
		.amdhsa_system_sgpr_workgroup_id_x 1
		.amdhsa_system_sgpr_workgroup_id_y 0
		.amdhsa_system_sgpr_workgroup_id_z 0
		.amdhsa_system_sgpr_workgroup_info 0
		.amdhsa_system_vgpr_workitem_id 0
		.amdhsa_next_free_vgpr 48
		.amdhsa_next_free_sgpr 27
		.amdhsa_reserve_vcc 1
		.amdhsa_reserve_flat_scratch 0
		.amdhsa_float_round_mode_32 0
		.amdhsa_float_round_mode_16_64 0
		.amdhsa_float_denorm_mode_32 3
		.amdhsa_float_denorm_mode_16_64 3
		.amdhsa_dx10_clamp 1
		.amdhsa_ieee_mode 1
		.amdhsa_fp16_overflow 0
		.amdhsa_workgroup_processor_mode 1
		.amdhsa_memory_ordered 1
		.amdhsa_forward_progress 0
		.amdhsa_shared_vgpr_count 0
		.amdhsa_exception_fp_ieee_invalid_op 0
		.amdhsa_exception_fp_denorm_src 0
		.amdhsa_exception_fp_ieee_div_zero 0
		.amdhsa_exception_fp_ieee_overflow 0
		.amdhsa_exception_fp_ieee_underflow 0
		.amdhsa_exception_fp_ieee_inexact 0
		.amdhsa_exception_int_div_zero 0
	.end_amdhsa_kernel
	.text
.Lfunc_end0:
	.size	fft_rtc_back_len245_factors_7_5_7_wgs_245_tpt_35_half_op_CI_CI_unitstride_sbrr_dirReg, .Lfunc_end0-fft_rtc_back_len245_factors_7_5_7_wgs_245_tpt_35_half_op_CI_CI_unitstride_sbrr_dirReg
                                        ; -- End function
	.section	.AMDGPU.csdata,"",@progbits
; Kernel info:
; codeLenInByte = 4744
; NumSgprs: 29
; NumVgprs: 48
; ScratchSize: 0
; MemoryBound: 0
; FloatMode: 240
; IeeeMode: 1
; LDSByteSize: 0 bytes/workgroup (compile time only)
; SGPRBlocks: 3
; VGPRBlocks: 5
; NumSGPRsForWavesPerEU: 29
; NumVGPRsForWavesPerEU: 48
; Occupancy: 16
; WaveLimiterHint : 1
; COMPUTE_PGM_RSRC2:SCRATCH_EN: 0
; COMPUTE_PGM_RSRC2:USER_SGPR: 6
; COMPUTE_PGM_RSRC2:TRAP_HANDLER: 0
; COMPUTE_PGM_RSRC2:TGID_X_EN: 1
; COMPUTE_PGM_RSRC2:TGID_Y_EN: 0
; COMPUTE_PGM_RSRC2:TGID_Z_EN: 0
; COMPUTE_PGM_RSRC2:TIDIG_COMP_CNT: 0
	.text
	.p2alignl 6, 3214868480
	.fill 48, 4, 3214868480
	.type	__hip_cuid_811ffb2661027998,@object ; @__hip_cuid_811ffb2661027998
	.section	.bss,"aw",@nobits
	.globl	__hip_cuid_811ffb2661027998
__hip_cuid_811ffb2661027998:
	.byte	0                               ; 0x0
	.size	__hip_cuid_811ffb2661027998, 1

	.ident	"AMD clang version 19.0.0git (https://github.com/RadeonOpenCompute/llvm-project roc-6.4.0 25133 c7fe45cf4b819c5991fe208aaa96edf142730f1d)"
	.section	".note.GNU-stack","",@progbits
	.addrsig
	.addrsig_sym __hip_cuid_811ffb2661027998
	.amdgpu_metadata
---
amdhsa.kernels:
  - .args:
      - .actual_access:  read_only
        .address_space:  global
        .offset:         0
        .size:           8
        .value_kind:     global_buffer
      - .offset:         8
        .size:           8
        .value_kind:     by_value
      - .actual_access:  read_only
        .address_space:  global
        .offset:         16
        .size:           8
        .value_kind:     global_buffer
      - .actual_access:  read_only
        .address_space:  global
        .offset:         24
        .size:           8
        .value_kind:     global_buffer
      - .actual_access:  read_only
        .address_space:  global
        .offset:         32
        .size:           8
        .value_kind:     global_buffer
      - .offset:         40
        .size:           8
        .value_kind:     by_value
      - .actual_access:  read_only
        .address_space:  global
        .offset:         48
        .size:           8
        .value_kind:     global_buffer
      - .actual_access:  read_only
        .address_space:  global
        .offset:         56
        .size:           8
        .value_kind:     global_buffer
      - .offset:         64
        .size:           4
        .value_kind:     by_value
      - .actual_access:  read_only
        .address_space:  global
        .offset:         72
        .size:           8
        .value_kind:     global_buffer
      - .actual_access:  read_only
        .address_space:  global
        .offset:         80
        .size:           8
        .value_kind:     global_buffer
      - .actual_access:  read_only
        .address_space:  global
        .offset:         88
        .size:           8
        .value_kind:     global_buffer
      - .actual_access:  write_only
        .address_space:  global
        .offset:         96
        .size:           8
        .value_kind:     global_buffer
    .group_segment_fixed_size: 0
    .kernarg_segment_align: 8
    .kernarg_segment_size: 104
    .language:       OpenCL C
    .language_version:
      - 2
      - 0
    .max_flat_workgroup_size: 245
    .name:           fft_rtc_back_len245_factors_7_5_7_wgs_245_tpt_35_half_op_CI_CI_unitstride_sbrr_dirReg
    .private_segment_fixed_size: 0
    .sgpr_count:     29
    .sgpr_spill_count: 0
    .symbol:         fft_rtc_back_len245_factors_7_5_7_wgs_245_tpt_35_half_op_CI_CI_unitstride_sbrr_dirReg.kd
    .uniform_work_group_size: 1
    .uses_dynamic_stack: false
    .vgpr_count:     48
    .vgpr_spill_count: 0
    .wavefront_size: 32
    .workgroup_processor_mode: 1
amdhsa.target:   amdgcn-amd-amdhsa--gfx1030
amdhsa.version:
  - 1
  - 2
...

	.end_amdgpu_metadata
